;; amdgpu-corpus repo=ROCm/rocFFT kind=compiled arch=gfx906 opt=O3
	.text
	.amdgcn_target "amdgcn-amd-amdhsa--gfx906"
	.amdhsa_code_object_version 6
	.protected	fft_rtc_back_len108_factors_6_6_3_wgs_576_tpt_36_dp_op_CI_CI_sbcc_twdbase5_3step_dirReg_intrinsicReadWrite ; -- Begin function fft_rtc_back_len108_factors_6_6_3_wgs_576_tpt_36_dp_op_CI_CI_sbcc_twdbase5_3step_dirReg_intrinsicReadWrite
	.globl	fft_rtc_back_len108_factors_6_6_3_wgs_576_tpt_36_dp_op_CI_CI_sbcc_twdbase5_3step_dirReg_intrinsicReadWrite
	.p2align	8
	.type	fft_rtc_back_len108_factors_6_6_3_wgs_576_tpt_36_dp_op_CI_CI_sbcc_twdbase5_3step_dirReg_intrinsicReadWrite,@function
fft_rtc_back_len108_factors_6_6_3_wgs_576_tpt_36_dp_op_CI_CI_sbcc_twdbase5_3step_dirReg_intrinsicReadWrite: ; @fft_rtc_back_len108_factors_6_6_3_wgs_576_tpt_36_dp_op_CI_CI_sbcc_twdbase5_3step_dirReg_intrinsicReadWrite
; %bb.0:
	s_load_dwordx8 s[8:15], s[4:5], 0x8
	s_load_dwordx2 s[2:3], s[4:5], 0x28
	s_movk_i32 s0, 0x60
	v_cmp_gt_u32_e32 vcc, s0, v0
	s_and_saveexec_b64 s[0:1], vcc
	s_cbranch_execz .LBB0_2
; %bb.1:
	v_lshlrev_b32_e32 v5, 4, v0
	s_waitcnt lgkmcnt(0)
	global_load_dwordx4 v[1:4], v5, s[8:9]
	v_add_u32_e32 v5, 0, v5
	v_add_u32_e32 v5, 0x6c00, v5
	s_waitcnt vmcnt(0)
	ds_write2_b64 v5, v[1:2], v[3:4] offset1:1
.LBB0_2:
	s_or_b64 exec, exec, s[0:1]
	s_waitcnt lgkmcnt(0)
	s_load_dwordx2 s[8:9], s[12:13], 0x8
	s_mov_b32 s7, 0
	s_mov_b64 s[28:29], 0
	s_waitcnt lgkmcnt(0)
	s_add_u32 s0, s8, -1
	s_addc_u32 s1, s9, -1
	s_lshr_b64 s[0:1], s[0:1], 4
	s_add_u32 s34, s0, 1
	s_addc_u32 s35, s1, 0
	v_mov_b32_e32 v1, s34
	v_mov_b32_e32 v2, s35
	v_cmp_lt_u64_e32 vcc, s[6:7], v[1:2]
	s_cbranch_vccnz .LBB0_4
; %bb.3:
	v_cvt_f32_u32_e32 v1, s34
	s_sub_i32 s0, 0, s34
	s_mov_b32 s29, s7
	v_rcp_iflag_f32_e32 v1, v1
	v_mul_f32_e32 v1, 0x4f7ffffe, v1
	v_cvt_u32_f32_e32 v1, v1
	v_readfirstlane_b32 s1, v1
	s_mul_i32 s0, s0, s1
	s_mul_hi_u32 s0, s1, s0
	s_add_i32 s1, s1, s0
	s_mul_hi_u32 s0, s6, s1
	s_mul_i32 s16, s0, s34
	s_sub_i32 s16, s6, s16
	s_add_i32 s1, s0, 1
	s_sub_i32 s17, s16, s34
	s_cmp_ge_u32 s16, s34
	s_cselect_b32 s0, s1, s0
	s_cselect_b32 s16, s17, s16
	s_add_i32 s1, s0, 1
	s_cmp_ge_u32 s16, s34
	s_cselect_b32 s28, s1, s0
.LBB0_4:
	s_load_dwordx4 s[20:23], s[4:5], 0x60
	s_load_dwordx2 s[30:31], s[4:5], 0x0
	s_load_dwordx4 s[24:27], s[14:15], 0x0
	s_mul_i32 s0, s28, s35
	s_mul_hi_u32 s1, s28, s34
	s_add_i32 s1, s1, s0
	s_mul_i32 s0, s28, s34
	s_sub_u32 s0, s6, s0
	s_subb_u32 s1, 0, s1
	v_mov_b32_e32 v1, s0
	s_load_dwordx4 s[16:19], s[2:3], 0x0
	v_alignbit_b32 v1, s1, v1, 28
	s_waitcnt lgkmcnt(0)
	v_mul_lo_u32 v2, s26, v1
	s_lshl_b64 s[4:5], s[0:1], 4
	s_mul_hi_u32 s0, s26, s4
	v_mul_lo_u32 v1, s18, v1
	v_add_u32_e32 v2, s0, v2
	s_mul_i32 s0, s27, s4
	v_add_u32_e32 v4, s0, v2
	s_mul_i32 s0, s26, s4
	v_mov_b32_e32 v3, s0
	s_mul_hi_u32 s0, s18, s4
	v_add_u32_e32 v1, s0, v1
	s_mul_i32 s0, s19, s4
	v_add_u32_e32 v5, s0, v1
	v_cmp_lt_u64_e64 s[0:1], s[10:11], 3
	s_mul_i32 s17, s18, s4
	v_mov_b32_e32 v28, s17
	s_and_b64 vcc, exec, s[0:1]
	s_cbranch_vccnz .LBB0_13
; %bb.5:
	s_add_u32 s36, s2, 16
	s_addc_u32 s37, s3, 0
	s_add_u32 s38, s14, 16
	s_addc_u32 s39, s15, 0
	s_add_u32 s12, s12, 16
	v_mov_b32_e32 v1, s10
	s_addc_u32 s13, s13, 0
	s_mov_b64 s[40:41], 2
	s_mov_b32 s42, 0
	v_mov_b32_e32 v2, s11
	s_branch .LBB0_7
.LBB0_6:                                ;   in Loop: Header=BB0_7 Depth=1
	s_mul_i32 s17, s44, s35
	s_mul_hi_u32 s19, s44, s34
	s_add_i32 s17, s19, s17
	s_mul_i32 s19, s45, s34
	s_add_i32 s35, s17, s19
	s_mul_i32 s17, s0, s45
	s_mul_hi_u32 s19, s0, s44
	s_add_i32 s17, s19, s17
	s_mul_i32 s19, s1, s44
	s_load_dwordx2 s[46:47], s[38:39], 0x0
	s_add_i32 s17, s17, s19
	s_mul_i32 s19, s0, s44
	s_sub_u32 s19, s28, s19
	s_subb_u32 s17, s29, s17
	s_load_dwordx2 s[28:29], s[36:37], 0x0
	s_waitcnt lgkmcnt(0)
	s_mul_i32 s25, s46, s17
	s_mul_hi_u32 s27, s46, s19
	s_add_i32 s25, s27, s25
	s_mul_i32 s27, s47, s19
	s_add_i32 s25, s25, s27
	v_mov_b32_e32 v6, s25
	s_mul_i32 s17, s28, s17
	s_mul_hi_u32 s25, s28, s19
	s_add_i32 s17, s25, s17
	s_mul_i32 s25, s29, s19
	s_add_i32 s17, s17, s25
	s_mul_i32 s27, s46, s19
	s_add_u32 s40, s40, 1
	v_add_co_u32_e32 v3, vcc, s27, v3
	s_addc_u32 s41, s41, 0
	v_addc_co_u32_e32 v4, vcc, v6, v4, vcc
	s_mul_i32 s19, s28, s19
	s_add_u32 s36, s36, 8
	v_mov_b32_e32 v6, s17
	v_add_co_u32_e32 v28, vcc, s19, v28
	s_addc_u32 s37, s37, 0
	v_addc_co_u32_e32 v5, vcc, v6, v5, vcc
	s_add_u32 s38, s38, 8
	s_addc_u32 s39, s39, 0
	v_cmp_ge_u64_e32 vcc, s[40:41], v[1:2]
	s_add_u32 s12, s12, 8
	s_mul_i32 s34, s44, s34
	s_addc_u32 s13, s13, 0
	s_mov_b64 s[28:29], s[0:1]
	s_cbranch_vccnz .LBB0_11
.LBB0_7:                                ; =>This Inner Loop Header: Depth=1
	s_load_dwordx2 s[44:45], s[12:13], 0x0
	s_waitcnt lgkmcnt(0)
	s_or_b64 s[0:1], s[28:29], s[44:45]
	s_mov_b32 s43, s1
	s_cmp_lg_u64 s[42:43], 0
	s_cbranch_scc0 .LBB0_9
; %bb.8:                                ;   in Loop: Header=BB0_7 Depth=1
	v_cvt_f32_u32_e32 v6, s44
	v_cvt_f32_u32_e32 v7, s45
	s_sub_u32 s0, 0, s44
	s_subb_u32 s1, 0, s45
	v_mac_f32_e32 v6, 0x4f800000, v7
	v_rcp_f32_e32 v6, v6
	v_mul_f32_e32 v6, 0x5f7ffffc, v6
	v_mul_f32_e32 v7, 0x2f800000, v6
	v_trunc_f32_e32 v7, v7
	v_mac_f32_e32 v6, 0xcf800000, v7
	v_cvt_u32_f32_e32 v7, v7
	v_cvt_u32_f32_e32 v6, v6
	v_readfirstlane_b32 s17, v7
	v_readfirstlane_b32 s19, v6
	s_mul_i32 s25, s0, s17
	s_mul_hi_u32 s33, s0, s19
	s_mul_i32 s27, s1, s19
	s_add_i32 s25, s33, s25
	s_mul_i32 s43, s0, s19
	s_add_i32 s25, s25, s27
	s_mul_hi_u32 s27, s19, s25
	s_mul_i32 s33, s19, s25
	s_mul_hi_u32 s19, s19, s43
	s_add_u32 s19, s19, s33
	s_addc_u32 s27, 0, s27
	s_mul_hi_u32 s46, s17, s43
	s_mul_i32 s43, s17, s43
	s_add_u32 s19, s19, s43
	s_mul_hi_u32 s33, s17, s25
	s_addc_u32 s19, s27, s46
	s_addc_u32 s27, s33, 0
	s_mul_i32 s25, s17, s25
	s_add_u32 s19, s19, s25
	s_addc_u32 s25, 0, s27
	v_add_co_u32_e32 v6, vcc, s19, v6
	s_cmp_lg_u64 vcc, 0
	s_addc_u32 s17, s17, s25
	v_readfirstlane_b32 s25, v6
	s_mul_i32 s19, s0, s17
	s_mul_hi_u32 s27, s0, s25
	s_add_i32 s19, s27, s19
	s_mul_i32 s1, s1, s25
	s_add_i32 s19, s19, s1
	s_mul_i32 s0, s0, s25
	s_mul_hi_u32 s27, s17, s0
	s_mul_i32 s33, s17, s0
	s_mul_i32 s46, s25, s19
	s_mul_hi_u32 s0, s25, s0
	s_mul_hi_u32 s43, s25, s19
	s_add_u32 s0, s0, s46
	s_addc_u32 s25, 0, s43
	s_add_u32 s0, s0, s33
	s_mul_hi_u32 s1, s17, s19
	s_addc_u32 s0, s25, s27
	s_addc_u32 s1, s1, 0
	s_mul_i32 s19, s17, s19
	s_add_u32 s0, s0, s19
	s_addc_u32 s1, 0, s1
	v_add_co_u32_e32 v6, vcc, s0, v6
	s_cmp_lg_u64 vcc, 0
	s_addc_u32 s0, s17, s1
	v_readfirstlane_b32 s19, v6
	s_mul_i32 s17, s28, s0
	s_mul_hi_u32 s25, s28, s19
	s_mul_hi_u32 s1, s28, s0
	s_add_u32 s17, s25, s17
	s_addc_u32 s1, 0, s1
	s_mul_hi_u32 s27, s29, s19
	s_mul_i32 s19, s29, s19
	s_add_u32 s17, s17, s19
	s_mul_hi_u32 s25, s29, s0
	s_addc_u32 s1, s1, s27
	s_addc_u32 s17, s25, 0
	s_mul_i32 s0, s29, s0
	s_add_u32 s19, s1, s0
	s_addc_u32 s17, 0, s17
	s_mul_i32 s0, s44, s17
	s_mul_hi_u32 s1, s44, s19
	s_add_i32 s0, s1, s0
	s_mul_i32 s1, s45, s19
	s_add_i32 s25, s0, s1
	s_mul_i32 s1, s44, s19
	v_mov_b32_e32 v6, s1
	s_sub_i32 s0, s29, s25
	v_sub_co_u32_e32 v6, vcc, s28, v6
	s_cmp_lg_u64 vcc, 0
	s_subb_u32 s27, s0, s45
	v_subrev_co_u32_e64 v7, s[0:1], s44, v6
	s_cmp_lg_u64 s[0:1], 0
	s_subb_u32 s0, s27, 0
	s_cmp_ge_u32 s0, s45
	v_readfirstlane_b32 s27, v7
	s_cselect_b32 s1, -1, 0
	s_cmp_ge_u32 s27, s44
	s_cselect_b32 s27, -1, 0
	s_cmp_eq_u32 s0, s45
	s_cselect_b32 s0, s27, s1
	s_add_u32 s1, s19, 1
	s_addc_u32 s27, s17, 0
	s_add_u32 s33, s19, 2
	s_addc_u32 s43, s17, 0
	s_cmp_lg_u32 s0, 0
	s_cselect_b32 s0, s33, s1
	s_cselect_b32 s1, s43, s27
	s_cmp_lg_u64 vcc, 0
	s_subb_u32 s25, s29, s25
	s_cmp_ge_u32 s25, s45
	v_readfirstlane_b32 s33, v6
	s_cselect_b32 s27, -1, 0
	s_cmp_ge_u32 s33, s44
	s_cselect_b32 s33, -1, 0
	s_cmp_eq_u32 s25, s45
	s_cselect_b32 s25, s33, s27
	s_cmp_lg_u32 s25, 0
	s_cselect_b32 s1, s1, s17
	s_cselect_b32 s0, s0, s19
	s_cbranch_execnz .LBB0_6
	s_branch .LBB0_10
.LBB0_9:                                ;   in Loop: Header=BB0_7 Depth=1
                                        ; implicit-def: $sgpr0_sgpr1
.LBB0_10:                               ;   in Loop: Header=BB0_7 Depth=1
	v_cvt_f32_u32_e32 v6, s44
	s_sub_i32 s0, 0, s44
	v_rcp_iflag_f32_e32 v6, v6
	v_mul_f32_e32 v6, 0x4f7ffffe, v6
	v_cvt_u32_f32_e32 v6, v6
	v_readfirstlane_b32 s1, v6
	s_mul_i32 s0, s0, s1
	s_mul_hi_u32 s0, s1, s0
	s_add_i32 s1, s1, s0
	s_mul_hi_u32 s0, s28, s1
	s_mul_i32 s17, s0, s44
	s_sub_i32 s17, s28, s17
	s_add_i32 s1, s0, 1
	s_sub_i32 s19, s17, s44
	s_cmp_ge_u32 s17, s44
	s_cselect_b32 s0, s1, s0
	s_cselect_b32 s17, s19, s17
	s_add_i32 s1, s0, 1
	s_cmp_ge_u32 s17, s44
	s_cselect_b32 s0, s1, s0
	s_mov_b32 s1, s42
	s_branch .LBB0_6
.LBB0_11:
	v_mov_b32_e32 v1, s34
	v_mov_b32_e32 v2, s35
	v_cmp_lt_u64_e32 vcc, s[6:7], v[1:2]
	s_mov_b64 s[28:29], 0
	s_cbranch_vccnz .LBB0_13
; %bb.12:
	v_cvt_f32_u32_e32 v1, s34
	s_sub_i32 s0, 0, s34
	v_rcp_iflag_f32_e32 v1, v1
	v_mul_f32_e32 v1, 0x4f7ffffe, v1
	v_cvt_u32_f32_e32 v1, v1
	v_readfirstlane_b32 s1, v1
	s_mul_i32 s0, s0, s1
	s_mul_hi_u32 s0, s1, s0
	s_add_i32 s1, s1, s0
	s_mul_hi_u32 s0, s6, s1
	s_mul_i32 s7, s0, s34
	s_sub_i32 s6, s6, s7
	s_add_i32 s1, s0, 1
	s_sub_i32 s7, s6, s34
	s_cmp_ge_u32 s6, s34
	s_cselect_b32 s0, s1, s0
	s_cselect_b32 s6, s7, s6
	s_add_i32 s1, s0, 1
	s_cmp_ge_u32 s6, s34
	s_cselect_b32 s28, s1, s0
.LBB0_13:
	s_lshl_b64 s[0:1], s[10:11], 3
	s_add_u32 s6, s14, s0
	s_addc_u32 s7, s15, s1
	s_load_dword s10, s[6:7], 0x0
	s_add_u32 s6, s2, s0
	s_addc_u32 s7, s3, s1
	s_add_u32 s0, s4, 16
	v_mov_b32_e32 v1, s8
	s_addc_u32 s1, s5, 0
	v_mov_b32_e32 v2, s9
	v_and_b32_e32 v29, 15, v0
	v_cmp_le_u64_e32 vcc, s[0:1], v[1:2]
	s_movk_i32 s0, 0x11f
	v_or_b32_e32 v25, s4, v29
	v_mov_b32_e32 v26, s5
	v_cmp_lt_u32_e64 s[4:5], s0, v0
	s_movk_i32 s0, 0x120
	v_cmp_gt_u32_e64 s[2:3], s0, v0
	v_cmp_gt_u64_e64 s[0:1], s[8:9], v[25:26]
	v_cndmask_b32_e64 v2, 0, 1, s[2:3]
	v_cndmask_b32_e64 v4, 0, 1, s[0:1]
	s_or_b64 s[4:5], s[4:5], vcc
	v_cndmask_b32_e64 v2, v4, v2, s[4:5]
	v_lshrrev_b32_e32 v30, 4, v0
	v_and_b32_e32 v2, 1, v2
	v_cmp_eq_u32_e64 s[4:5], 1, v2
	v_add_u32_e32 v2, 36, v30
	v_mul_lo_u32 v21, s26, v29
	v_mul_lo_u32 v1, s24, v30
	;; [unrolled: 1-line block ×3, first 2 shown]
	v_add_u32_e32 v6, 54, v30
	v_add_u32_e32 v8, 0x5a, v30
	v_mul_lo_u32 v6, s24, v6
	v_mul_lo_u32 v8, s24, v8
	s_waitcnt lgkmcnt(0)
	s_mul_i32 s10, s10, s28
	v_add_u32_e32 v3, s10, v3
	v_add_lshl_u32 v1, v21, v1, 4
	v_lshlrev_b32_e32 v3, 4, v3
	v_add_lshl_u32 v2, v21, v2, 4
	v_add_u32_e32 v5, 18, v30
	v_cndmask_b32_e64 v1, -1, v1, s[4:5]
	s_mov_b32 s11, 0x20000
	s_mov_b32 s10, -2
	s_mov_b32 s8, s20
	s_mov_b32 s9, s21
	v_readfirstlane_b32 s12, v3
	v_cndmask_b32_e64 v17, -1, v2, s[4:5]
	v_add_u32_e32 v7, 0x48, v30
	v_mul_lo_u32 v22, s24, v5
	v_add_lshl_u32 v5, v21, v6, 4
	v_add_lshl_u32 v6, v21, v8, 4
	buffer_load_dwordx4 v[1:4], v1, s[8:11], s12 offen
	v_mul_lo_u32 v18, s24, v7
	v_cndmask_b32_e64 v19, -1, v5, s[4:5]
	v_cndmask_b32_e64 v20, -1, v6, s[4:5]
	buffer_load_dwordx4 v[5:8], v17, s[8:11], s12 offen
	buffer_load_dwordx4 v[9:12], v19, s[8:11], s12 offen
	;; [unrolled: 1-line block ×3, first 2 shown]
	v_add_lshl_u32 v17, v21, v18, 4
	v_add_lshl_u32 v21, v21, v22, 4
	v_cndmask_b32_e64 v17, -1, v17, s[4:5]
	v_cndmask_b32_e64 v21, -1, v21, s[4:5]
	buffer_load_dwordx4 v[17:20], v17, s[8:11], s12 offen
	s_mov_b32 s4, 0xe8584caa
	buffer_load_dwordx4 v[21:24], v21, s[8:11], s12 offen
	s_mov_b32 s5, 0xbfebb67a
	s_mov_b32 s9, 0x3febb67a
	;; [unrolled: 1-line block ×3, first 2 shown]
	s_waitcnt vmcnt(4)
	v_add_f64 v[26:27], v[1:2], v[5:6]
	v_add_f64 v[35:36], v[3:4], v[7:8]
	s_waitcnt vmcnt(2)
	v_add_f64 v[31:32], v[9:10], v[13:14]
	v_add_f64 v[33:34], v[11:12], v[15:16]
	s_waitcnt vmcnt(1)
	v_add_f64 v[37:38], v[5:6], v[17:18]
	v_add_f64 v[39:40], v[7:8], -v[19:20]
	s_waitcnt vmcnt(0)
	v_add_f64 v[41:42], v[21:22], v[9:10]
	v_fma_f64 v[21:22], v[31:32], -0.5, v[21:22]
	v_fma_f64 v[31:32], v[33:34], -0.5, v[23:24]
	v_add_f64 v[9:10], v[9:10], -v[13:14]
	v_add_f64 v[7:8], v[7:8], v[19:20]
	v_add_f64 v[5:6], v[5:6], -v[17:18]
	v_add_f64 v[23:24], v[23:24], v[11:12]
	v_add_f64 v[17:18], v[26:27], v[17:18]
	v_add_f64 v[11:12], v[11:12], -v[15:16]
	v_add_f64 v[13:14], v[41:42], v[13:14]
	v_add_f64 v[19:20], v[35:36], v[19:20]
	v_fma_f64 v[26:27], v[9:10], s[8:9], v[31:32]
	v_fma_f64 v[9:10], v[9:10], s[4:5], v[31:32]
	v_fma_f64 v[7:8], v[7:8], -0.5, v[3:4]
	v_add_f64 v[15:16], v[23:24], v[15:16]
	v_fma_f64 v[23:24], v[37:38], -0.5, v[1:2]
	v_fma_f64 v[31:32], v[11:12], s[4:5], v[21:22]
	v_fma_f64 v[11:12], v[11:12], s[8:9], v[21:22]
	v_add_f64 v[1:2], v[17:18], v[13:14]
	v_mul_f64 v[33:34], v[26:27], s[4:5]
	v_mul_f64 v[26:27], v[26:27], 0.5
	v_mul_f64 v[21:22], v[9:10], s[4:5]
	v_mul_f64 v[9:10], v[9:10], -0.5
	v_fma_f64 v[35:36], v[39:40], s[4:5], v[23:24]
	v_fma_f64 v[37:38], v[5:6], s[8:9], v[7:8]
	v_add_f64 v[3:4], v[19:20], v[15:16]
	v_fma_f64 v[33:34], v[31:32], 0.5, v[33:34]
	v_fma_f64 v[26:27], v[31:32], s[8:9], v[26:27]
	v_fma_f64 v[31:32], v[39:40], s[8:9], v[23:24]
	;; [unrolled: 1-line block ×3, first 2 shown]
	v_fma_f64 v[41:42], v[11:12], -0.5, v[21:22]
	v_fma_f64 v[43:44], v[11:12], s[8:9], v[9:10]
	v_add_f64 v[9:10], v[17:18], -v[13:14]
	v_add_f64 v[11:12], v[19:20], -v[15:16]
	v_add_f64 v[5:6], v[35:36], v[33:34]
	v_add_f64 v[7:8], v[37:38], v[26:27]
	v_add_f64 v[21:22], v[35:36], -v[33:34]
	v_add_f64 v[23:24], v[37:38], -v[26:27]
	v_add_f64 v[17:18], v[31:32], v[41:42]
	v_add_f64 v[19:20], v[39:40], v[43:44]
	v_add_f64 v[13:14], v[31:32], -v[41:42]
	v_add_f64 v[15:16], v[39:40], -v[43:44]
	v_lshlrev_b32_e32 v31, 4, v29
	s_and_saveexec_b64 s[4:5], s[2:3]
	s_cbranch_execz .LBB0_15
; %bb.14:
	v_mul_u32_u24_e32 v26, 0x60, v30
	v_lshlrev_b32_e32 v26, 4, v26
	v_add3_u32 v26, 0, v26, v31
	ds_write_b128 v26, v[1:4]
	ds_write_b128 v26, v[5:8] offset:256
	ds_write_b128 v26, v[17:20] offset:512
	;; [unrolled: 1-line block ×5, first 2 shown]
.LBB0_15:
	s_or_b64 exec, exec, s[4:5]
	s_load_dwordx2 s[4:5], s[6:7], 0x0
	v_lshlrev_b32_e32 v32, 8, v30
	s_waitcnt lgkmcnt(0)
	s_barrier
	s_and_saveexec_b64 s[6:7], s[2:3]
	s_cbranch_execz .LBB0_17
; %bb.16:
	v_add3_u32 v13, 0, v32, v31
	ds_read_b128 v[1:4], v13
	ds_read_b128 v[5:8], v13 offset:4608
	ds_read_b128 v[17:20], v13 offset:9216
	;; [unrolled: 1-line block ×5, first 2 shown]
.LBB0_17:
	s_or_b64 exec, exec, s[6:7]
	s_waitcnt lgkmcnt(0)
	s_barrier
	s_and_saveexec_b64 s[6:7], s[2:3]
	s_cbranch_execz .LBB0_19
; %bb.18:
	s_mov_b32 s2, 0x2aaaaaab
	v_mul_hi_u32 v26, v30, s2
	s_mov_b32 s8, 0xe8584caa
	s_mov_b32 s9, 0xbfebb67a
	;; [unrolled: 1-line block ×3, first 2 shown]
	v_mul_u32_u24_e32 v26, 6, v26
	v_sub_u32_e32 v33, v30, v26
	v_mul_u32_u24_e32 v26, 5, v33
	v_lshlrev_b32_e32 v34, 4, v26
	global_load_dwordx4 v[35:38], v34, s[30:31] offset:16
	s_mov_b32 s2, s8
	s_waitcnt vmcnt(0)
	v_mul_f64 v[26:27], v[17:18], v[37:38]
	v_mul_f64 v[37:38], v[19:20], v[37:38]
	v_fma_f64 v[26:27], v[19:20], v[35:36], -v[26:27]
	v_fma_f64 v[19:20], v[17:18], v[35:36], v[37:38]
	global_load_dwordx4 v[35:38], v34, s[30:31] offset:48
	v_add_f64 v[41:42], v[3:4], v[26:27]
	s_waitcnt vmcnt(0)
	v_mul_f64 v[17:18], v[21:22], v[37:38]
	v_mul_f64 v[37:38], v[23:24], v[37:38]
	v_fma_f64 v[23:24], v[23:24], v[35:36], -v[17:18]
	v_fma_f64 v[17:18], v[21:22], v[35:36], v[37:38]
	global_load_dwordx4 v[35:38], v34, s[30:31] offset:32
	s_waitcnt vmcnt(0)
	v_mul_f64 v[21:22], v[9:10], v[37:38]
	v_mul_f64 v[37:38], v[11:12], v[37:38]
	v_fma_f64 v[21:22], v[11:12], v[35:36], -v[21:22]
	v_fma_f64 v[35:36], v[9:10], v[35:36], v[37:38]
	global_load_dwordx4 v[9:12], v34, s[30:31] offset:64
	s_waitcnt vmcnt(0)
	v_mul_f64 v[37:38], v[13:14], v[11:12]
	v_mul_f64 v[11:12], v[15:16], v[11:12]
	v_fma_f64 v[15:16], v[15:16], v[9:10], -v[37:38]
	v_fma_f64 v[9:10], v[13:14], v[9:10], v[11:12]
	global_load_dwordx4 v[11:14], v34, s[30:31]
	v_add_f64 v[39:40], v[21:22], -v[15:16]
	s_waitcnt vmcnt(0)
	v_mul_f64 v[37:38], v[5:6], v[13:14]
	v_mul_f64 v[13:14], v[7:8], v[13:14]
	v_fma_f64 v[7:8], v[7:8], v[11:12], -v[37:38]
	v_add_f64 v[37:38], v[21:22], v[15:16]
	v_fma_f64 v[5:6], v[5:6], v[11:12], v[13:14]
	v_add_f64 v[13:14], v[35:36], v[9:10]
	v_add_f64 v[11:12], v[26:27], v[23:24]
	v_add_f64 v[26:27], v[26:27], -v[23:24]
	v_add_f64 v[23:24], v[41:42], v[23:24]
	v_add_f64 v[41:42], v[1:2], v[19:20]
	;; [unrolled: 1-line block ×3, first 2 shown]
	v_fma_f64 v[7:8], v[37:38], -0.5, v[7:8]
	v_add_f64 v[37:38], v[35:36], -v[9:10]
	v_add_f64 v[34:35], v[5:6], v[35:36]
	v_fma_f64 v[5:6], v[13:14], -0.5, v[5:6]
	v_add_f64 v[13:14], v[19:20], v[17:18]
	v_add_f64 v[19:20], v[19:20], -v[17:18]
	v_fma_f64 v[3:4], v[11:12], -0.5, v[3:4]
	v_add_f64 v[15:16], v[21:22], v[15:16]
	v_mul_lo_u16_e32 v36, 43, v30
	v_fma_f64 v[21:22], v[37:38], s[8:9], v[7:8]
	v_fma_f64 v[7:8], v[37:38], s[2:3], v[7:8]
	v_mov_b32_e32 v37, 36
	v_mul_lo_u16_sdwa v36, v36, v37 dst_sel:DWORD dst_unused:UNUSED_PAD src0_sel:BYTE_1 src1_sel:DWORD
	v_fma_f64 v[1:2], v[13:14], -0.5, v[1:2]
	v_add_f64 v[9:10], v[34:35], v[9:10]
	v_fma_f64 v[13:14], v[39:40], s[2:3], v[5:6]
	v_fma_f64 v[5:6], v[39:40], s[8:9], v[5:6]
	v_and_b32_e32 v44, 0xfc, v36
	v_mul_f64 v[34:35], v[7:8], 0.5
	v_mul_f64 v[7:8], v[7:8], s[8:9]
	v_add_f64 v[11:12], v[41:42], v[17:18]
	v_mul_f64 v[17:18], v[21:22], -0.5
	v_fma_f64 v[36:37], v[19:20], s[8:9], v[3:4]
	v_fma_f64 v[38:39], v[19:20], s[2:3], v[3:4]
	v_mul_f64 v[19:20], v[21:22], s[8:9]
	v_fma_f64 v[40:41], v[26:27], s[2:3], v[1:2]
	v_fma_f64 v[26:27], v[26:27], s[8:9], v[1:2]
	;; [unrolled: 1-line block ×3, first 2 shown]
	v_fma_f64 v[34:35], v[5:6], 0.5, v[7:8]
	v_fma_f64 v[17:18], v[13:14], s[2:3], v[17:18]
	v_add_f64 v[7:8], v[23:24], v[15:16]
	v_add_f64 v[5:6], v[11:12], v[9:10]
	v_fma_f64 v[42:43], v[13:14], -0.5, v[19:20]
	v_add_f64 v[3:4], v[23:24], -v[15:16]
	v_add_f64 v[1:2], v[11:12], -v[9:10]
	;; [unrolled: 1-line block ×3, first 2 shown]
	v_add_f64 v[23:24], v[38:39], v[21:22]
	v_add_f64 v[21:22], v[26:27], v[34:35]
	v_add_f64 v[11:12], v[36:37], -v[17:18]
	v_add_f64 v[19:20], v[36:37], v[17:18]
	v_add_f64 v[17:18], v[40:41], v[42:43]
	v_add_f64 v[13:14], v[26:27], -v[34:35]
	v_add_f64 v[9:10], v[40:41], -v[42:43]
	v_add_lshl_u32 v26, v33, v44, 8
	v_add3_u32 v26, 0, v26, v31
	ds_write_b128 v26, v[5:8]
	ds_write_b128 v26, v[1:4] offset:4608
	ds_write_b128 v26, v[21:24] offset:1536
	ds_write_b128 v26, v[17:20] offset:3072
	ds_write_b128 v26, v[13:16] offset:6144
	ds_write_b128 v26, v[9:12] offset:7680
.LBB0_19:
	s_or_b64 exec, exec, s[6:7]
	s_mov_b32 s2, 0x71c71c8
	v_mul_hi_u32 v1, v30, s2
	s_waitcnt lgkmcnt(0)
	s_barrier
	v_mul_u32_u24_e32 v1, 36, v1
	v_sub_u32_e32 v13, v30, v1
	v_lshlrev_b32_e32 v9, 5, v13
	global_load_dwordx4 v[5:8], v9, s[30:31] offset:480
	global_load_dwordx4 v[1:4], v9, s[30:31] offset:496
	v_mul_lo_u32 v38, v13, v25
	s_add_i32 s10, 0, 0x6c00
	v_mul_lo_u32 v40, v25, 36
	v_add3_u32 v39, 0, v32, v31
	v_and_b32_e32 v9, 31, v38
	v_lshrrev_b32_e32 v10, 1, v38
	v_lshl_add_u32 v9, v9, 4, 0
	v_and_b32_e32 v10, 0x1f0, v10
	v_add_u32_e32 v10, s10, v10
	ds_read_b128 v[14:17], v9 offset:27648
	ds_read_b128 v[18:21], v10 offset:512
	v_add_u32_e32 v41, v38, v40
	v_and_b32_e32 v11, 31, v41
	v_lshrrev_b32_e32 v12, 1, v41
	v_lshl_add_u32 v9, v11, 4, 0
	s_waitcnt lgkmcnt(0)
	v_mul_f64 v[26:27], v[16:17], v[20:21]
	v_mul_f64 v[20:21], v[14:15], v[20:21]
	v_and_b32_e32 v10, 0x1f0, v12
	ds_read_b128 v[22:25], v9 offset:27648
	v_lshrrev_b32_e32 v34, 6, v41
	v_add_u32_e32 v42, v41, v40
	s_mul_i32 s4, s4, s28
	s_movk_i32 s12, 0x6c
	v_fma_f64 v[26:27], v[14:15], v[18:19], -v[26:27]
	v_fma_f64 v[36:37], v[16:17], v[18:19], v[20:21]
	ds_read_b128 v[14:17], v39 offset:9216
	v_add_u32_e32 v9, s10, v10
	ds_read_b128 v[30:33], v9 offset:512
	ds_read_b128 v[18:21], v39
	v_and_b32_e32 v9, 0x1f0, v34
	v_add_u32_e32 v9, s10, v9
	ds_read_b128 v[9:12], v9 offset:1024
	s_waitcnt lgkmcnt(2)
	v_mul_f64 v[34:35], v[24:25], v[32:33]
	v_mul_f64 v[32:33], v[22:23], v[32:33]
	s_mov_b32 s2, 0xe8584caa
	s_mov_b32 s3, 0xbfebb67a
	;; [unrolled: 1-line block ×4, first 2 shown]
	s_or_b64 vcc, vcc, s[0:1]
	s_mov_b32 s7, 0x20000
	v_fma_f64 v[34:35], v[22:23], v[30:31], -v[34:35]
	v_fma_f64 v[30:31], v[24:25], v[30:31], v[32:33]
	v_lshrrev_b32_e32 v22, 6, v38
	v_and_b32_e32 v22, 0x1f0, v22
	v_add_u32_e32 v22, s10, v22
	ds_read_b128 v[22:25], v22 offset:1024
	s_mov_b32 s6, -2
	s_mov_b32 s5, s23
	s_waitcnt vmcnt(1)
	v_mul_f64 v[32:33], v[16:17], v[7:8]
	v_mul_f64 v[7:8], v[14:15], v[7:8]
	v_fma_f64 v[32:33], v[14:15], v[5:6], v[32:33]
	v_fma_f64 v[6:7], v[16:17], v[5:6], -v[7:8]
	ds_read_b128 v[14:17], v39 offset:18432
	v_mul_lo_u32 v5, s18, v29
	v_mul_hi_u32_u24_e32 v8, 0x71c71d, v0
	v_and_b32_e32 v0, 31, v42
	v_lshrrev_b32_e32 v29, 1, v42
	s_waitcnt vmcnt(0) lgkmcnt(0)
	v_mul_f64 v[38:39], v[14:15], v[3:4]
	v_mul_f64 v[3:4], v[16:17], v[3:4]
	v_lshl_add_u32 v0, v0, 4, 0
	v_and_b32_e32 v29, 0x1f0, v29
	v_add_u32_e32 v29, s10, v29
	v_fma_f64 v[38:39], v[16:17], v[1:2], -v[38:39]
	v_fma_f64 v[40:41], v[14:15], v[1:2], v[3:4]
	ds_read_b128 v[0:3], v0 offset:27648
	ds_read_b128 v[14:17], v29 offset:512
	v_add_u32_e32 v4, s4, v28
	v_lshlrev_b32_e32 v4, 4, v4
	v_readfirstlane_b32 s11, v4
	v_mad_u32_u24 v4, v8, s12, v13
	s_waitcnt lgkmcnt(0)
	v_mul_f64 v[28:29], v[0:1], v[16:17]
	v_mul_f64 v[16:17], v[2:3], v[16:17]
	v_lshrrev_b32_e32 v8, 6, v42
	v_and_b32_e32 v8, 0x1f0, v8
	v_add_u32_e32 v8, s10, v8
	v_add_f64 v[42:43], v[18:19], v[32:33]
	v_mul_lo_u32 v44, s16, v4
	s_mov_b32 s4, s22
	v_fma_f64 v[28:29], v[2:3], v[14:15], v[28:29]
	v_fma_f64 v[13:14], v[0:1], v[14:15], -v[16:17]
	v_mul_f64 v[0:1], v[36:37], v[24:25]
	v_mul_f64 v[2:3], v[26:27], v[24:25]
	v_add_f64 v[15:16], v[6:7], v[38:39]
	v_add_f64 v[24:25], v[32:33], v[40:41]
	v_add_f64 v[32:33], v[32:33], -v[40:41]
	v_fma_f64 v[26:27], v[22:23], v[26:27], -v[0:1]
	v_fma_f64 v[22:23], v[22:23], v[36:37], v[2:3]
	ds_read_b128 v[0:3], v8 offset:1024
	v_fma_f64 v[15:16], v[15:16], -0.5, v[20:21]
	v_fma_f64 v[17:18], v[24:25], -0.5, v[18:19]
	v_add_f64 v[19:20], v[20:21], v[6:7]
	v_mul_f64 v[36:37], v[34:35], v[11:12]
	s_waitcnt lgkmcnt(0)
	v_mul_f64 v[24:25], v[13:14], v[2:3]
	v_add_f64 v[6:7], v[6:7], -v[38:39]
	v_mul_f64 v[11:12], v[30:31], v[11:12]
	v_mul_f64 v[2:3], v[28:29], v[2:3]
	v_add_u32_e32 v8, 36, v4
	v_mul_lo_u32 v45, s16, v8
	v_add_f64 v[19:20], v[19:20], v[38:39]
	v_fma_f64 v[36:37], v[9:10], v[30:31], v[36:37]
	v_fma_f64 v[24:25], v[0:1], v[28:29], v[24:25]
	v_add_f64 v[28:29], v[42:43], v[40:41]
	v_fma_f64 v[30:31], v[32:33], s[8:9], v[15:16]
	v_fma_f64 v[38:39], v[6:7], s[2:3], v[17:18]
	;; [unrolled: 1-line block ×4, first 2 shown]
	v_fma_f64 v[8:9], v[9:10], v[34:35], -v[11:12]
	v_fma_f64 v[12:13], v[0:1], v[13:14], -v[2:3]
	v_mul_f64 v[0:1], v[19:20], v[22:23]
	v_mul_f64 v[2:3], v[28:29], v[22:23]
	;; [unrolled: 1-line block ×6, first 2 shown]
	v_add_u32_e32 v4, 0x48, v4
	v_mul_lo_u32 v4, s16, v4
	v_fma_f64 v[0:1], v[28:29], v[26:27], v[0:1]
	v_fma_f64 v[2:3], v[19:20], v[26:27], -v[2:3]
	v_fma_f64 v[6:7], v[38:39], v[8:9], v[6:7]
	v_fma_f64 v[8:9], v[30:31], v[8:9], -v[10:11]
	;; [unrolled: 2-line block ×3, first 2 shown]
	v_add_lshl_u32 v14, v5, v44, 4
	v_cndmask_b32_e32 v14, -1, v14, vcc
	v_add_lshl_u32 v15, v5, v45, 4
	v_add_lshl_u32 v4, v5, v4, 4
	v_cndmask_b32_e32 v5, -1, v15, vcc
	v_cndmask_b32_e32 v4, -1, v4, vcc
	buffer_store_dwordx4 v[0:3], v14, s[4:7], s11 offen
	buffer_store_dwordx4 v[6:9], v5, s[4:7], s11 offen
	;; [unrolled: 1-line block ×3, first 2 shown]
	s_endpgm
	.section	.rodata,"a",@progbits
	.p2align	6, 0x0
	.amdhsa_kernel fft_rtc_back_len108_factors_6_6_3_wgs_576_tpt_36_dp_op_CI_CI_sbcc_twdbase5_3step_dirReg_intrinsicReadWrite
		.amdhsa_group_segment_fixed_size 0
		.amdhsa_private_segment_fixed_size 0
		.amdhsa_kernarg_size 112
		.amdhsa_user_sgpr_count 6
		.amdhsa_user_sgpr_private_segment_buffer 1
		.amdhsa_user_sgpr_dispatch_ptr 0
		.amdhsa_user_sgpr_queue_ptr 0
		.amdhsa_user_sgpr_kernarg_segment_ptr 1
		.amdhsa_user_sgpr_dispatch_id 0
		.amdhsa_user_sgpr_flat_scratch_init 0
		.amdhsa_user_sgpr_private_segment_size 0
		.amdhsa_uses_dynamic_stack 0
		.amdhsa_system_sgpr_private_segment_wavefront_offset 0
		.amdhsa_system_sgpr_workgroup_id_x 1
		.amdhsa_system_sgpr_workgroup_id_y 0
		.amdhsa_system_sgpr_workgroup_id_z 0
		.amdhsa_system_sgpr_workgroup_info 0
		.amdhsa_system_vgpr_workitem_id 0
		.amdhsa_next_free_vgpr 46
		.amdhsa_next_free_sgpr 48
		.amdhsa_reserve_vcc 1
		.amdhsa_reserve_flat_scratch 0
		.amdhsa_float_round_mode_32 0
		.amdhsa_float_round_mode_16_64 0
		.amdhsa_float_denorm_mode_32 3
		.amdhsa_float_denorm_mode_16_64 3
		.amdhsa_dx10_clamp 1
		.amdhsa_ieee_mode 1
		.amdhsa_fp16_overflow 0
		.amdhsa_exception_fp_ieee_invalid_op 0
		.amdhsa_exception_fp_denorm_src 0
		.amdhsa_exception_fp_ieee_div_zero 0
		.amdhsa_exception_fp_ieee_overflow 0
		.amdhsa_exception_fp_ieee_underflow 0
		.amdhsa_exception_fp_ieee_inexact 0
		.amdhsa_exception_int_div_zero 0
	.end_amdhsa_kernel
	.text
.Lfunc_end0:
	.size	fft_rtc_back_len108_factors_6_6_3_wgs_576_tpt_36_dp_op_CI_CI_sbcc_twdbase5_3step_dirReg_intrinsicReadWrite, .Lfunc_end0-fft_rtc_back_len108_factors_6_6_3_wgs_576_tpt_36_dp_op_CI_CI_sbcc_twdbase5_3step_dirReg_intrinsicReadWrite
                                        ; -- End function
	.section	.AMDGPU.csdata,"",@progbits
; Kernel info:
; codeLenInByte = 4112
; NumSgprs: 52
; NumVgprs: 46
; ScratchSize: 0
; MemoryBound: 0
; FloatMode: 240
; IeeeMode: 1
; LDSByteSize: 0 bytes/workgroup (compile time only)
; SGPRBlocks: 6
; VGPRBlocks: 11
; NumSGPRsForWavesPerEU: 52
; NumVGPRsForWavesPerEU: 46
; Occupancy: 5
; WaveLimiterHint : 0
; COMPUTE_PGM_RSRC2:SCRATCH_EN: 0
; COMPUTE_PGM_RSRC2:USER_SGPR: 6
; COMPUTE_PGM_RSRC2:TRAP_HANDLER: 0
; COMPUTE_PGM_RSRC2:TGID_X_EN: 1
; COMPUTE_PGM_RSRC2:TGID_Y_EN: 0
; COMPUTE_PGM_RSRC2:TGID_Z_EN: 0
; COMPUTE_PGM_RSRC2:TIDIG_COMP_CNT: 0
	.type	__hip_cuid_3a35ebb8865db7fe,@object ; @__hip_cuid_3a35ebb8865db7fe
	.section	.bss,"aw",@nobits
	.globl	__hip_cuid_3a35ebb8865db7fe
__hip_cuid_3a35ebb8865db7fe:
	.byte	0                               ; 0x0
	.size	__hip_cuid_3a35ebb8865db7fe, 1

	.ident	"AMD clang version 19.0.0git (https://github.com/RadeonOpenCompute/llvm-project roc-6.4.0 25133 c7fe45cf4b819c5991fe208aaa96edf142730f1d)"
	.section	".note.GNU-stack","",@progbits
	.addrsig
	.addrsig_sym __hip_cuid_3a35ebb8865db7fe
	.amdgpu_metadata
---
amdhsa.kernels:
  - .args:
      - .actual_access:  read_only
        .address_space:  global
        .offset:         0
        .size:           8
        .value_kind:     global_buffer
      - .address_space:  global
        .offset:         8
        .size:           8
        .value_kind:     global_buffer
      - .offset:         16
        .size:           8
        .value_kind:     by_value
      - .actual_access:  read_only
        .address_space:  global
        .offset:         24
        .size:           8
        .value_kind:     global_buffer
      - .actual_access:  read_only
        .address_space:  global
        .offset:         32
        .size:           8
        .value_kind:     global_buffer
      - .actual_access:  read_only
        .address_space:  global
        .offset:         40
        .size:           8
        .value_kind:     global_buffer
      - .offset:         48
        .size:           8
        .value_kind:     by_value
      - .actual_access:  read_only
        .address_space:  global
        .offset:         56
        .size:           8
        .value_kind:     global_buffer
      - .actual_access:  read_only
        .address_space:  global
        .offset:         64
        .size:           8
        .value_kind:     global_buffer
      - .offset:         72
        .size:           4
        .value_kind:     by_value
      - .actual_access:  read_only
        .address_space:  global
        .offset:         80
        .size:           8
        .value_kind:     global_buffer
      - .actual_access:  read_only
        .address_space:  global
        .offset:         88
        .size:           8
        .value_kind:     global_buffer
      - .address_space:  global
        .offset:         96
        .size:           8
        .value_kind:     global_buffer
      - .address_space:  global
        .offset:         104
        .size:           8
        .value_kind:     global_buffer
    .group_segment_fixed_size: 0
    .kernarg_segment_align: 8
    .kernarg_segment_size: 112
    .language:       OpenCL C
    .language_version:
      - 2
      - 0
    .max_flat_workgroup_size: 576
    .name:           fft_rtc_back_len108_factors_6_6_3_wgs_576_tpt_36_dp_op_CI_CI_sbcc_twdbase5_3step_dirReg_intrinsicReadWrite
    .private_segment_fixed_size: 0
    .sgpr_count:     52
    .sgpr_spill_count: 0
    .symbol:         fft_rtc_back_len108_factors_6_6_3_wgs_576_tpt_36_dp_op_CI_CI_sbcc_twdbase5_3step_dirReg_intrinsicReadWrite.kd
    .uniform_work_group_size: 1
    .uses_dynamic_stack: false
    .vgpr_count:     46
    .vgpr_spill_count: 0
    .wavefront_size: 64
amdhsa.target:   amdgcn-amd-amdhsa--gfx906
amdhsa.version:
  - 1
  - 2
...

	.end_amdgpu_metadata
